;; amdgpu-corpus repo=ROCm/rocFFT kind=compiled arch=gfx906 opt=O3
	.text
	.amdgcn_target "amdgcn-amd-amdhsa--gfx906"
	.amdhsa_code_object_version 6
	.protected	fft_rtc_back_len128_factors_16_8_wgs_256_tpt_16_dp_op_CI_CI_sbcc_twdbase6_3step_dirReg ; -- Begin function fft_rtc_back_len128_factors_16_8_wgs_256_tpt_16_dp_op_CI_CI_sbcc_twdbase6_3step_dirReg
	.globl	fft_rtc_back_len128_factors_16_8_wgs_256_tpt_16_dp_op_CI_CI_sbcc_twdbase6_3step_dirReg
	.p2align	8
	.type	fft_rtc_back_len128_factors_16_8_wgs_256_tpt_16_dp_op_CI_CI_sbcc_twdbase6_3step_dirReg,@function
fft_rtc_back_len128_factors_16_8_wgs_256_tpt_16_dp_op_CI_CI_sbcc_twdbase6_3step_dirReg: ; @fft_rtc_back_len128_factors_16_8_wgs_256_tpt_16_dp_op_CI_CI_sbcc_twdbase6_3step_dirReg
; %bb.0:
	s_load_dwordx8 s[8:15], s[4:5], 0x8
	s_load_dwordx2 s[2:3], s[4:5], 0x28
	s_movk_i32 s0, 0xc0
	v_cmp_gt_u32_e32 vcc, s0, v0
	s_and_saveexec_b64 s[0:1], vcc
	s_cbranch_execz .LBB0_2
; %bb.1:
	v_lshlrev_b32_e32 v5, 4, v0
	s_waitcnt lgkmcnt(0)
	global_load_dwordx4 v[1:4], v5, s[8:9]
	v_add_u32_e32 v5, 0, v5
	v_add_u32_e32 v5, 0x8000, v5
	s_waitcnt vmcnt(0)
	ds_write2_b64 v5, v[1:2], v[3:4] offset1:1
.LBB0_2:
	s_or_b64 exec, exec, s[0:1]
	s_waitcnt lgkmcnt(0)
	s_load_dwordx2 s[30:31], s[12:13], 0x8
	s_mov_b32 s7, 0
	s_mov_b64 s[8:9], 0
	s_waitcnt lgkmcnt(0)
	s_add_u32 s0, s30, -1
	s_addc_u32 s1, s31, -1
	s_lshr_b64 s[0:1], s[0:1], 4
	s_add_u32 s36, s0, 1
	s_addc_u32 s37, s1, 0
	v_mov_b32_e32 v1, s36
	v_mov_b32_e32 v2, s37
	v_cmp_lt_u64_e32 vcc, s[6:7], v[1:2]
	s_cbranch_vccnz .LBB0_4
; %bb.3:
	v_cvt_f32_u32_e32 v1, s36
	s_sub_i32 s0, 0, s36
	v_rcp_iflag_f32_e32 v1, v1
	v_mul_f32_e32 v1, 0x4f7ffffe, v1
	v_cvt_u32_f32_e32 v1, v1
	v_readfirstlane_b32 s1, v1
	s_mul_i32 s0, s0, s1
	s_mul_hi_u32 s0, s1, s0
	s_add_i32 s1, s1, s0
	s_mul_hi_u32 s0, s6, s1
	s_mul_i32 s8, s0, s36
	s_sub_i32 s8, s6, s8
	s_add_i32 s1, s0, 1
	s_sub_i32 s9, s8, s36
	s_cmp_ge_u32 s8, s36
	s_cselect_b32 s0, s1, s0
	s_cselect_b32 s8, s9, s8
	s_add_i32 s1, s0, 1
	s_cmp_ge_u32 s8, s36
	s_cselect_b32 s8, s1, s0
	s_mov_b32 s9, s7
.LBB0_4:
	s_load_dwordx4 s[20:23], s[4:5], 0x60
	s_load_dwordx2 s[28:29], s[4:5], 0x0
	s_load_dwordx4 s[24:27], s[14:15], 0x0
	s_mul_i32 s0, s8, s37
	s_mul_hi_u32 s1, s8, s36
	s_add_i32 s1, s1, s0
	s_mul_i32 s0, s8, s36
	s_sub_u32 s0, s6, s0
	s_subb_u32 s1, 0, s1
	v_mov_b32_e32 v1, s0
	s_load_dwordx4 s[16:19], s[2:3], 0x0
	v_alignbit_b32 v1, s1, v1, 28
	s_waitcnt lgkmcnt(0)
	v_mul_lo_u32 v2, s26, v1
	s_lshl_b64 s[34:35], s[0:1], 4
	s_mul_hi_u32 s0, s26, s34
	v_mul_lo_u32 v1, s18, v1
	v_add_u32_e32 v2, s0, v2
	s_mul_i32 s0, s27, s34
	v_add_u32_e32 v3, s0, v2
	s_mul_i32 s0, s26, s34
	v_mov_b32_e32 v4, s0
	s_mul_hi_u32 s0, s18, s34
	v_add_u32_e32 v1, s0, v1
	s_mul_i32 s0, s19, s34
	v_add_u32_e32 v65, s0, v1
	v_cmp_lt_u64_e64 s[0:1], s[10:11], 3
	s_mul_i32 s4, s18, s34
	v_mov_b32_e32 v64, s4
	s_and_b64 vcc, exec, s[0:1]
	s_cbranch_vccnz .LBB0_13
; %bb.5:
	s_add_u32 s4, s2, 16
	s_addc_u32 s5, s3, 0
	s_add_u32 s38, s14, 16
	s_addc_u32 s39, s15, 0
	s_add_u32 s12, s12, 16
	v_mov_b32_e32 v1, s10
	s_addc_u32 s13, s13, 0
	s_mov_b64 s[40:41], 2
	s_mov_b32 s42, 0
	v_mov_b32_e32 v2, s11
	s_branch .LBB0_7
.LBB0_6:                                ;   in Loop: Header=BB0_7 Depth=1
	s_mul_i32 s33, s44, s37
	s_mul_hi_u32 s37, s44, s36
	s_add_i32 s33, s37, s33
	s_mul_i32 s37, s45, s36
	s_add_i32 s37, s33, s37
	s_mul_i32 s33, s0, s45
	s_mul_hi_u32 s43, s0, s44
	s_load_dwordx2 s[46:47], s[38:39], 0x0
	s_add_i32 s33, s43, s33
	s_mul_i32 s43, s1, s44
	s_add_i32 s33, s33, s43
	s_mul_i32 s43, s0, s44
	s_sub_u32 s43, s8, s43
	s_subb_u32 s33, s9, s33
	s_waitcnt lgkmcnt(0)
	s_mul_i32 s8, s46, s33
	s_mul_hi_u32 s9, s46, s43
	s_add_i32 s8, s9, s8
	s_mul_i32 s9, s47, s43
	s_add_i32 s8, s8, s9
	v_mov_b32_e32 v5, s8
	s_load_dwordx2 s[8:9], s[4:5], 0x0
	s_mul_i32 s36, s44, s36
	s_mul_i32 s44, s46, s43
	v_add_co_u32_e32 v4, vcc, s44, v4
	s_waitcnt lgkmcnt(0)
	s_mul_i32 s33, s8, s33
	s_mul_hi_u32 s44, s8, s43
	s_add_i32 s33, s44, s33
	s_mul_i32 s9, s9, s43
	s_add_i32 s9, s33, s9
	s_add_u32 s40, s40, 1
	s_addc_u32 s41, s41, 0
	v_addc_co_u32_e32 v3, vcc, v5, v3, vcc
	s_mul_i32 s8, s8, s43
	s_add_u32 s4, s4, 8
	v_mov_b32_e32 v5, s9
	v_add_co_u32_e32 v64, vcc, s8, v64
	s_addc_u32 s5, s5, 0
	v_addc_co_u32_e32 v65, vcc, v5, v65, vcc
	s_add_u32 s38, s38, 8
	s_addc_u32 s39, s39, 0
	v_cmp_ge_u64_e32 vcc, s[40:41], v[1:2]
	s_add_u32 s12, s12, 8
	s_addc_u32 s13, s13, 0
	s_mov_b64 s[8:9], s[0:1]
	s_cbranch_vccnz .LBB0_11
.LBB0_7:                                ; =>This Inner Loop Header: Depth=1
	s_load_dwordx2 s[44:45], s[12:13], 0x0
	s_waitcnt lgkmcnt(0)
	s_or_b64 s[0:1], s[8:9], s[44:45]
	s_mov_b32 s43, s1
	s_cmp_lg_u64 s[42:43], 0
	s_cbranch_scc0 .LBB0_9
; %bb.8:                                ;   in Loop: Header=BB0_7 Depth=1
	v_cvt_f32_u32_e32 v5, s44
	v_cvt_f32_u32_e32 v6, s45
	s_sub_u32 s0, 0, s44
	s_subb_u32 s1, 0, s45
	v_mac_f32_e32 v5, 0x4f800000, v6
	v_rcp_f32_e32 v5, v5
	v_mul_f32_e32 v5, 0x5f7ffffc, v5
	v_mul_f32_e32 v6, 0x2f800000, v5
	v_trunc_f32_e32 v6, v6
	v_mac_f32_e32 v5, 0xcf800000, v6
	v_cvt_u32_f32_e32 v6, v6
	v_cvt_u32_f32_e32 v5, v5
	v_readfirstlane_b32 s33, v6
	v_readfirstlane_b32 s43, v5
	s_mul_i32 s46, s0, s33
	s_mul_hi_u32 s48, s0, s43
	s_mul_i32 s47, s1, s43
	s_add_i32 s46, s48, s46
	s_mul_i32 s49, s0, s43
	s_add_i32 s46, s46, s47
	s_mul_hi_u32 s47, s43, s46
	s_mul_i32 s48, s43, s46
	s_mul_hi_u32 s43, s43, s49
	s_add_u32 s43, s43, s48
	s_addc_u32 s47, 0, s47
	s_mul_hi_u32 s50, s33, s49
	s_mul_i32 s49, s33, s49
	s_add_u32 s43, s43, s49
	s_mul_hi_u32 s48, s33, s46
	s_addc_u32 s43, s47, s50
	s_addc_u32 s47, s48, 0
	s_mul_i32 s46, s33, s46
	s_add_u32 s43, s43, s46
	s_addc_u32 s46, 0, s47
	v_add_co_u32_e32 v5, vcc, s43, v5
	s_cmp_lg_u64 vcc, 0
	s_addc_u32 s33, s33, s46
	v_readfirstlane_b32 s46, v5
	s_mul_i32 s43, s0, s33
	s_mul_hi_u32 s47, s0, s46
	s_add_i32 s43, s47, s43
	s_mul_i32 s1, s1, s46
	s_add_i32 s43, s43, s1
	s_mul_i32 s0, s0, s46
	s_mul_hi_u32 s47, s33, s0
	s_mul_i32 s48, s33, s0
	s_mul_i32 s50, s46, s43
	s_mul_hi_u32 s0, s46, s0
	s_mul_hi_u32 s49, s46, s43
	s_add_u32 s0, s0, s50
	s_addc_u32 s46, 0, s49
	s_add_u32 s0, s0, s48
	s_mul_hi_u32 s1, s33, s43
	s_addc_u32 s0, s46, s47
	s_addc_u32 s1, s1, 0
	s_mul_i32 s43, s33, s43
	s_add_u32 s0, s0, s43
	s_addc_u32 s1, 0, s1
	v_add_co_u32_e32 v5, vcc, s0, v5
	s_cmp_lg_u64 vcc, 0
	s_addc_u32 s0, s33, s1
	v_readfirstlane_b32 s43, v5
	s_mul_i32 s33, s8, s0
	s_mul_hi_u32 s46, s8, s43
	s_mul_hi_u32 s1, s8, s0
	s_add_u32 s33, s46, s33
	s_addc_u32 s1, 0, s1
	s_mul_hi_u32 s47, s9, s43
	s_mul_i32 s43, s9, s43
	s_add_u32 s33, s33, s43
	s_mul_hi_u32 s46, s9, s0
	s_addc_u32 s1, s1, s47
	s_addc_u32 s33, s46, 0
	s_mul_i32 s0, s9, s0
	s_add_u32 s43, s1, s0
	s_addc_u32 s33, 0, s33
	s_mul_i32 s0, s44, s33
	s_mul_hi_u32 s1, s44, s43
	s_add_i32 s0, s1, s0
	s_mul_i32 s1, s45, s43
	s_add_i32 s46, s0, s1
	s_mul_i32 s1, s44, s43
	v_mov_b32_e32 v5, s1
	s_sub_i32 s0, s9, s46
	v_sub_co_u32_e32 v5, vcc, s8, v5
	s_cmp_lg_u64 vcc, 0
	s_subb_u32 s47, s0, s45
	v_subrev_co_u32_e64 v6, s[0:1], s44, v5
	s_cmp_lg_u64 s[0:1], 0
	s_subb_u32 s0, s47, 0
	s_cmp_ge_u32 s0, s45
	v_readfirstlane_b32 s47, v6
	s_cselect_b32 s1, -1, 0
	s_cmp_ge_u32 s47, s44
	s_cselect_b32 s47, -1, 0
	s_cmp_eq_u32 s0, s45
	s_cselect_b32 s0, s47, s1
	s_add_u32 s1, s43, 1
	s_addc_u32 s47, s33, 0
	s_add_u32 s48, s43, 2
	s_addc_u32 s49, s33, 0
	s_cmp_lg_u32 s0, 0
	s_cselect_b32 s0, s48, s1
	s_cselect_b32 s1, s49, s47
	s_cmp_lg_u64 vcc, 0
	s_subb_u32 s46, s9, s46
	s_cmp_ge_u32 s46, s45
	v_readfirstlane_b32 s48, v5
	s_cselect_b32 s47, -1, 0
	s_cmp_ge_u32 s48, s44
	s_cselect_b32 s48, -1, 0
	s_cmp_eq_u32 s46, s45
	s_cselect_b32 s46, s48, s47
	s_cmp_lg_u32 s46, 0
	s_cselect_b32 s1, s1, s33
	s_cselect_b32 s0, s0, s43
	s_cbranch_execnz .LBB0_6
	s_branch .LBB0_10
.LBB0_9:                                ;   in Loop: Header=BB0_7 Depth=1
                                        ; implicit-def: $sgpr0_sgpr1
.LBB0_10:                               ;   in Loop: Header=BB0_7 Depth=1
	v_cvt_f32_u32_e32 v5, s44
	s_sub_i32 s0, 0, s44
	v_rcp_iflag_f32_e32 v5, v5
	v_mul_f32_e32 v5, 0x4f7ffffe, v5
	v_cvt_u32_f32_e32 v5, v5
	v_readfirstlane_b32 s1, v5
	s_mul_i32 s0, s0, s1
	s_mul_hi_u32 s0, s1, s0
	s_add_i32 s1, s1, s0
	s_mul_hi_u32 s0, s8, s1
	s_mul_i32 s33, s0, s44
	s_sub_i32 s33, s8, s33
	s_add_i32 s1, s0, 1
	s_sub_i32 s43, s33, s44
	s_cmp_ge_u32 s33, s44
	s_cselect_b32 s0, s1, s0
	s_cselect_b32 s33, s43, s33
	s_add_i32 s1, s0, 1
	s_cmp_ge_u32 s33, s44
	s_cselect_b32 s0, s1, s0
	s_mov_b32 s1, s42
	s_branch .LBB0_6
.LBB0_11:
	v_mov_b32_e32 v1, s36
	v_mov_b32_e32 v2, s37
	v_cmp_lt_u64_e32 vcc, s[6:7], v[1:2]
	s_mov_b64 s[8:9], 0
	s_cbranch_vccnz .LBB0_13
; %bb.12:
	v_cvt_f32_u32_e32 v1, s36
	s_sub_i32 s0, 0, s36
	v_rcp_iflag_f32_e32 v1, v1
	v_mul_f32_e32 v1, 0x4f7ffffe, v1
	v_cvt_u32_f32_e32 v1, v1
	v_readfirstlane_b32 s1, v1
	s_mul_i32 s0, s0, s1
	s_mul_hi_u32 s0, s1, s0
	s_add_i32 s1, s1, s0
	s_mul_hi_u32 s0, s6, s1
	s_mul_i32 s4, s0, s36
	s_sub_i32 s4, s6, s4
	s_add_i32 s1, s0, 1
	s_sub_i32 s5, s4, s36
	s_cmp_ge_u32 s4, s36
	s_cselect_b32 s0, s1, s0
	s_cselect_b32 s4, s5, s4
	s_add_i32 s1, s0, 1
	s_cmp_ge_u32 s4, s36
	s_cselect_b32 s8, s1, s0
.LBB0_13:
	s_lshl_b64 s[0:1], s[10:11], 3
	s_add_u32 s4, s14, s0
	s_addc_u32 s5, s15, s1
	s_load_dwordx2 s[4:5], s[4:5], 0x0
	v_lshrrev_b32_e32 v70, 4, v0
	v_and_b32_e32 v75, 15, v0
	v_or_b32_e32 v79, 8, v70
	v_or_b32_e32 v74, 16, v70
	s_waitcnt lgkmcnt(0)
	s_mul_i32 s5, s5, s8
	s_mul_hi_u32 s6, s4, s8
	s_add_i32 s5, s6, s5
	s_mul_i32 s4, s4, s8
	s_add_u32 s6, s2, s0
	v_mov_b32_e32 v2, s5
	v_add_co_u32_e32 v1, vcc, s4, v4
	s_addc_u32 s7, s3, s1
	v_addc_co_u32_e32 v2, vcc, v2, v3, vcc
	s_add_u32 s0, s34, 16
	v_mov_b32_e32 v3, s30
	s_addc_u32 s1, s35, 0
	v_mov_b32_e32 v4, s31
	v_cmp_le_u64_e32 vcc, s[0:1], v[3:4]
	s_movk_i32 s0, 0x7f
	v_cmp_lt_u32_e64 s[2:3], s0, v0
	s_movk_i32 s0, 0x80
	v_cmp_gt_u32_e64 s[4:5], s0, v0
	v_lshlrev_b64 v[68:69], 4, v[1:2]
	s_and_b64 s[0:1], s[4:5], vcc
	v_or_b32_e32 v78, 24, v70
	v_or_b32_e32 v73, 32, v70
	;; [unrolled: 1-line block ×6, first 2 shown]
                                        ; implicit-def: $vgpr2_vgpr3
                                        ; implicit-def: $vgpr6_vgpr7
                                        ; implicit-def: $vgpr14_vgpr15
                                        ; implicit-def: $vgpr18_vgpr19
                                        ; implicit-def: $vgpr22_vgpr23
                                        ; implicit-def: $vgpr26_vgpr27
                                        ; implicit-def: $vgpr30_vgpr31
                                        ; implicit-def: $vgpr34_vgpr35
                                        ; implicit-def: $vgpr42_vgpr43
                                        ; implicit-def: $vgpr46_vgpr47
                                        ; implicit-def: $vgpr50_vgpr51
                                        ; implicit-def: $vgpr54_vgpr55
                                        ; implicit-def: $vgpr58_vgpr59
                                        ; implicit-def: $vgpr62_vgpr63
                                        ; implicit-def: $vgpr38_vgpr39
                                        ; implicit-def: $vgpr10_vgpr11
	s_and_saveexec_b64 s[10:11], s[0:1]
	s_cbranch_execz .LBB0_15
; %bb.14:
	v_mad_u64_u32 v[0:1], s[0:1], s26, v75, 0
	v_mad_u64_u32 v[2:3], s[0:1], s24, v70, 0
	;; [unrolled: 1-line block ×3, first 2 shown]
	v_mov_b32_e32 v1, v3
	v_mad_u64_u32 v[5:6], s[0:1], s25, v70, v[1:2]
	v_mov_b32_e32 v1, v4
	v_mov_b32_e32 v4, s21
	v_add_co_u32_e64 v6, s[0:1], s20, v68
	v_mov_b32_e32 v3, v5
	v_addc_co_u32_e64 v7, s[0:1], v4, v69, s[0:1]
	v_mad_u64_u32 v[4:5], s[0:1], s24, v79, 0
	v_lshlrev_b64 v[0:1], 4, v[0:1]
	v_add_co_u32_e64 v8, s[0:1], v6, v0
	v_addc_co_u32_e64 v9, s[0:1], v7, v1, s[0:1]
	v_lshlrev_b64 v[0:1], 4, v[2:3]
	v_mov_b32_e32 v2, v5
	v_mad_u64_u32 v[2:3], s[0:1], s25, v79, v[2:3]
	v_mad_u64_u32 v[6:7], s[0:1], s24, v74, 0
	v_add_co_u32_e64 v60, s[0:1], v8, v0
	v_mov_b32_e32 v5, v2
	v_mov_b32_e32 v2, v7
	v_addc_co_u32_e64 v61, s[0:1], v9, v1, s[0:1]
	v_mad_u64_u32 v[2:3], s[0:1], s25, v74, v[2:3]
	v_lshlrev_b64 v[0:1], 4, v[4:5]
	v_mad_u64_u32 v[3:4], s[0:1], s24, v78, 0
	v_add_co_u32_e64 v62, s[0:1], v8, v0
	v_mov_b32_e32 v7, v2
	v_mov_b32_e32 v2, v4
	v_addc_co_u32_e64 v63, s[0:1], v9, v1, s[0:1]
	v_mad_u64_u32 v[4:5], s[0:1], s25, v78, v[2:3]
	v_lshlrev_b64 v[0:1], 4, v[6:7]
	v_mad_u64_u32 v[5:6], s[0:1], s24, v73, 0
	v_add_co_u32_e64 v66, s[0:1], v8, v0
	v_mov_b32_e32 v2, v6
	v_addc_co_u32_e64 v67, s[0:1], v9, v1, s[0:1]
	v_lshlrev_b64 v[0:1], 4, v[3:4]
	v_mad_u64_u32 v[2:3], s[0:1], s25, v73, v[2:3]
	v_mad_u64_u32 v[3:4], s[0:1], s24, v77, 0
	v_add_co_u32_e64 v80, s[0:1], v8, v0
	v_mov_b32_e32 v6, v2
	v_mov_b32_e32 v2, v4
	v_addc_co_u32_e64 v81, s[0:1], v9, v1, s[0:1]
	v_lshlrev_b64 v[0:1], 4, v[5:6]
	v_mad_u64_u32 v[4:5], s[0:1], s25, v77, v[2:3]
	v_mad_u64_u32 v[5:6], s[0:1], s24, v72, 0
	v_add_co_u32_e64 v82, s[0:1], v8, v0
	v_mov_b32_e32 v2, v6
	v_addc_co_u32_e64 v83, s[0:1], v9, v1, s[0:1]
	v_lshlrev_b64 v[0:1], 4, v[3:4]
	v_mad_u64_u32 v[2:3], s[0:1], s25, v72, v[2:3]
	v_mad_u64_u32 v[3:4], s[0:1], s24, v76, 0
	v_add_co_u32_e64 v84, s[0:1], v8, v0
	v_mov_b32_e32 v6, v2
	v_mov_b32_e32 v2, v4
	v_addc_co_u32_e64 v85, s[0:1], v9, v1, s[0:1]
	v_lshlrev_b64 v[0:1], 4, v[5:6]
	v_mad_u64_u32 v[4:5], s[0:1], s25, v76, v[2:3]
	v_mad_u64_u32 v[5:6], s[0:1], s24, v71, 0
	v_add_co_u32_e64 v86, s[0:1], v8, v0
	v_mov_b32_e32 v2, v6
	v_addc_co_u32_e64 v87, s[0:1], v9, v1, s[0:1]
	v_lshlrev_b64 v[0:1], 4, v[3:4]
	v_mad_u64_u32 v[2:3], s[0:1], s25, v71, v[2:3]
	v_or_b32_e32 v7, 0x48, v70
	v_mad_u64_u32 v[3:4], s[0:1], s24, v7, 0
	v_add_co_u32_e64 v88, s[0:1], v8, v0
	v_mov_b32_e32 v6, v2
	v_mov_b32_e32 v2, v4
	v_addc_co_u32_e64 v89, s[0:1], v9, v1, s[0:1]
	v_lshlrev_b64 v[0:1], 4, v[5:6]
	v_mad_u64_u32 v[4:5], s[0:1], s25, v7, v[2:3]
	v_or_b32_e32 v7, 0x50, v70
	v_mad_u64_u32 v[5:6], s[0:1], s24, v7, 0
	v_add_co_u32_e64 v90, s[0:1], v8, v0
	v_mov_b32_e32 v2, v6
	v_addc_co_u32_e64 v91, s[0:1], v9, v1, s[0:1]
	v_lshlrev_b64 v[0:1], 4, v[3:4]
	v_mad_u64_u32 v[2:3], s[0:1], s25, v7, v[2:3]
	v_or_b32_e32 v7, 0x58, v70
	v_mad_u64_u32 v[3:4], s[0:1], s24, v7, 0
	v_add_co_u32_e64 v92, s[0:1], v8, v0
	v_mov_b32_e32 v6, v2
	v_mov_b32_e32 v2, v4
	v_addc_co_u32_e64 v93, s[0:1], v9, v1, s[0:1]
	v_lshlrev_b64 v[0:1], 4, v[5:6]
	v_mad_u64_u32 v[4:5], s[0:1], s25, v7, v[2:3]
	v_or_b32_e32 v7, 0x60, v70
	;; [unrolled: 15-line block ×3, first 2 shown]
	v_mad_u64_u32 v[5:6], s[0:1], s24, v7, 0
	v_add_co_u32_e64 v98, s[0:1], v8, v0
	v_mov_b32_e32 v2, v6
	v_addc_co_u32_e64 v99, s[0:1], v9, v1, s[0:1]
	v_lshlrev_b64 v[0:1], 4, v[3:4]
	v_mad_u64_u32 v[2:3], s[0:1], s25, v7, v[2:3]
	v_or_b32_e32 v7, 0x78, v70
	v_mad_u64_u32 v[3:4], s[0:1], s24, v7, 0
	v_add_co_u32_e64 v100, s[0:1], v8, v0
	v_mov_b32_e32 v6, v2
	v_mov_b32_e32 v2, v4
	v_addc_co_u32_e64 v101, s[0:1], v9, v1, s[0:1]
	v_lshlrev_b64 v[0:1], 4, v[5:6]
	v_mad_u64_u32 v[4:5], s[0:1], s25, v7, v[2:3]
	v_add_co_u32_e64 v102, s[0:1], v8, v0
	v_addc_co_u32_e64 v103, s[0:1], v9, v1, s[0:1]
	v_lshlrev_b64 v[0:1], 4, v[3:4]
	v_add_co_u32_e64 v104, s[0:1], v8, v0
	v_addc_co_u32_e64 v105, s[0:1], v9, v1, s[0:1]
	global_load_dwordx4 v[8:11], v[60:61], off
	global_load_dwordx4 v[0:3], v[62:63], off
	;; [unrolled: 1-line block ×15, first 2 shown]
                                        ; kill: killed $vgpr100 killed $vgpr101
                                        ; kill: killed $vgpr84 killed $vgpr85
                                        ; kill: killed $vgpr102 killed $vgpr103
                                        ; kill: killed $vgpr86 killed $vgpr87
                                        ; kill: killed $vgpr88 killed $vgpr89
                                        ; kill: killed $vgpr90 killed $vgpr91
                                        ; kill: killed $vgpr60 killed $vgpr61
                                        ; kill: killed $vgpr92 killed $vgpr93
                                        ; kill: killed $vgpr62 killed $vgpr63
                                        ; kill: killed $vgpr94 killed $vgpr95
                                        ; kill: killed $vgpr66 killed $vgpr67
                                        ; kill: killed $vgpr96 killed $vgpr97
                                        ; kill: killed $vgpr80 killed $vgpr81
                                        ; kill: killed $vgpr98 killed $vgpr99
                                        ; kill: killed $vgpr82 killed $vgpr83
	global_load_dwordx4 v[60:63], v[104:105], off
.LBB0_15:
	s_or_b64 exec, exec, s[10:11]
	v_mov_b32_e32 v67, s35
	v_or_b32_e32 v66, s34, v75
	v_cmp_gt_u64_e64 s[0:1], s[30:31], v[66:67]
	s_xor_b64 s[10:11], vcc, -1
	s_and_b64 s[4:5], s[4:5], s[0:1]
	s_and_b64 s[4:5], s[10:11], s[4:5]
	s_and_saveexec_b64 s[10:11], s[4:5]
	s_cbranch_execz .LBB0_17
; %bb.16:
	s_waitcnt vmcnt(14)
	v_mad_u64_u32 v[0:1], s[4:5], s26, v75, 0
	v_mad_u64_u32 v[2:3], s[4:5], s24, v70, 0
	s_waitcnt vmcnt(5)
	v_or_b32_e32 v42, 0x48, v70
	s_waitcnt vmcnt(3)
	v_or_b32_e32 v49, 0x58, v70
	v_mad_u64_u32 v[4:5], s[4:5], s27, v75, v[1:2]
	v_mov_b32_e32 v1, v3
	v_mad_u64_u32 v[5:6], s[4:5], s25, v70, v[1:2]
	v_mov_b32_e32 v1, v4
	v_mov_b32_e32 v4, s21
	v_add_co_u32_e64 v6, s[4:5], s20, v68
	v_mov_b32_e32 v3, v5
	v_addc_co_u32_e64 v7, s[4:5], v4, v69, s[4:5]
	v_mad_u64_u32 v[4:5], s[4:5], s24, v79, 0
	v_lshlrev_b64 v[0:1], 4, v[0:1]
	s_waitcnt vmcnt(1)
	v_or_b32_e32 v58, 0x68, v70
	v_add_co_u32_e64 v69, s[4:5], v6, v0
	v_addc_co_u32_e64 v80, s[4:5], v7, v1, s[4:5]
	v_lshlrev_b64 v[0:1], 4, v[2:3]
	v_mov_b32_e32 v2, v5
	v_mad_u64_u32 v[2:3], s[4:5], s25, v79, v[2:3]
	v_add_co_u32_e64 v6, s[4:5], v69, v0
	v_mov_b32_e32 v5, v2
	v_addc_co_u32_e64 v7, s[4:5], v80, v1, s[4:5]
	v_lshlrev_b64 v[0:1], 4, v[4:5]
	v_mad_u64_u32 v[4:5], s[4:5], s24, v74, 0
	v_add_co_u32_e64 v12, s[4:5], v69, v0
	v_mov_b32_e32 v0, v5
	v_addc_co_u32_e64 v13, s[4:5], v80, v1, s[4:5]
	v_mad_u64_u32 v[14:15], s[4:5], s25, v74, v[0:1]
	v_mad_u64_u32 v[15:16], s[4:5], s24, v78, 0
	global_load_dwordx4 v[8:11], v[6:7], off
	global_load_dwordx4 v[0:3], v[12:13], off
	v_mov_b32_e32 v5, v14
	v_mov_b32_e32 v6, v16
	v_lshlrev_b64 v[4:5], 4, v[4:5]
	v_mad_u64_u32 v[6:7], s[4:5], s25, v78, v[6:7]
	v_add_co_u32_e64 v17, s[4:5], v69, v4
	v_addc_co_u32_e64 v18, s[4:5], v80, v5, s[4:5]
	v_mad_u64_u32 v[19:20], s[4:5], s24, v73, 0
	v_mov_b32_e32 v16, v6
	v_lshlrev_b64 v[4:5], 4, v[15:16]
	v_add_co_u32_e64 v21, s[4:5], v69, v4
	v_mov_b32_e32 v4, v20
	v_addc_co_u32_e64 v22, s[4:5], v80, v5, s[4:5]
	v_mad_u64_u32 v[23:24], s[4:5], s25, v73, v[4:5]
	v_mad_u64_u32 v[24:25], s[4:5], s24, v77, 0
	global_load_dwordx4 v[4:7], v[17:18], off
	global_load_dwordx4 v[12:15], v[21:22], off
	v_mov_b32_e32 v20, v23
	v_mov_b32_e32 v18, v25
	v_lshlrev_b64 v[16:17], 4, v[19:20]
	v_mad_u64_u32 v[18:19], s[4:5], s25, v77, v[18:19]
	v_add_co_u32_e64 v26, s[4:5], v69, v16
	v_mov_b32_e32 v25, v18
	v_addc_co_u32_e64 v27, s[4:5], v80, v17, s[4:5]
	v_lshlrev_b64 v[16:17], 4, v[24:25]
	v_mad_u64_u32 v[24:25], s[4:5], s24, v72, 0
	v_add_co_u32_e64 v28, s[4:5], v69, v16
	v_mov_b32_e32 v16, v25
	v_addc_co_u32_e64 v29, s[4:5], v80, v17, s[4:5]
	v_mad_u64_u32 v[30:31], s[4:5], s25, v72, v[16:17]
	v_mad_u64_u32 v[31:32], s[4:5], s24, v76, 0
	global_load_dwordx4 v[16:19], v[26:27], off
	global_load_dwordx4 v[20:23], v[28:29], off
	v_mov_b32_e32 v25, v30
	v_mov_b32_e32 v26, v32
	v_lshlrev_b64 v[24:25], 4, v[24:25]
	v_mad_u64_u32 v[26:27], s[4:5], s25, v76, v[26:27]
	v_add_co_u32_e64 v33, s[4:5], v69, v24
	v_addc_co_u32_e64 v34, s[4:5], v80, v25, s[4:5]
	v_mad_u64_u32 v[35:36], s[4:5], s24, v71, 0
	v_mov_b32_e32 v32, v26
	v_lshlrev_b64 v[24:25], 4, v[31:32]
	v_add_co_u32_e64 v37, s[4:5], v69, v24
	v_mov_b32_e32 v24, v36
	v_addc_co_u32_e64 v38, s[4:5], v80, v25, s[4:5]
	v_mad_u64_u32 v[39:40], s[4:5], s25, v71, v[24:25]
	v_mad_u64_u32 v[40:41], s[4:5], s24, v42, 0
	global_load_dwordx4 v[24:27], v[33:34], off
	global_load_dwordx4 v[28:31], v[37:38], off
	v_mov_b32_e32 v36, v39
	v_mov_b32_e32 v34, v41
	v_lshlrev_b64 v[32:33], 4, v[35:36]
	v_mad_u64_u32 v[34:35], s[4:5], s25, v42, v[34:35]
	v_add_co_u32_e64 v42, s[4:5], v69, v32
	v_mov_b32_e32 v41, v34
	v_or_b32_e32 v34, 0x50, v70
	v_addc_co_u32_e64 v43, s[4:5], v80, v33, s[4:5]
	v_lshlrev_b64 v[32:33], 4, v[40:41]
	v_mad_u64_u32 v[40:41], s[4:5], s24, v34, 0
	v_add_co_u32_e64 v44, s[4:5], v69, v32
	v_mov_b32_e32 v32, v41
	v_addc_co_u32_e64 v45, s[4:5], v80, v33, s[4:5]
	v_mad_u64_u32 v[46:47], s[4:5], s25, v34, v[32:33]
	v_mad_u64_u32 v[47:48], s[4:5], s24, v49, 0
	global_load_dwordx4 v[32:35], v[42:43], off
	global_load_dwordx4 v[36:39], v[44:45], off
	v_mov_b32_e32 v41, v46
	v_mov_b32_e32 v42, v48
	v_mad_u64_u32 v[42:43], s[4:5], s25, v49, v[42:43]
	v_lshlrev_b64 v[40:41], 4, v[40:41]
	v_add_co_u32_e64 v49, s[4:5], v69, v40
	v_mov_b32_e32 v48, v42
	v_or_b32_e32 v42, 0x60, v70
	v_addc_co_u32_e64 v50, s[4:5], v80, v41, s[4:5]
	v_mad_u64_u32 v[51:52], s[4:5], s24, v42, 0
	v_lshlrev_b64 v[40:41], 4, v[47:48]
	v_add_co_u32_e64 v53, s[4:5], v69, v40
	v_mov_b32_e32 v40, v52
	v_addc_co_u32_e64 v54, s[4:5], v80, v41, s[4:5]
	v_mad_u64_u32 v[55:56], s[4:5], s25, v42, v[40:41]
	v_mad_u64_u32 v[56:57], s[4:5], s24, v58, 0
	global_load_dwordx4 v[40:43], v[49:50], off
	global_load_dwordx4 v[44:47], v[53:54], off
	v_mov_b32_e32 v52, v55
	v_mov_b32_e32 v50, v57
	v_lshlrev_b64 v[48:49], 4, v[51:52]
	v_mad_u64_u32 v[50:51], s[4:5], s25, v58, v[50:51]
	v_add_co_u32_e64 v58, s[4:5], v69, v48
	v_mov_b32_e32 v57, v50
	v_or_b32_e32 v50, 0x70, v70
	v_addc_co_u32_e64 v59, s[4:5], v80, v49, s[4:5]
	v_lshlrev_b64 v[48:49], 4, v[56:57]
	v_mad_u64_u32 v[56:57], s[4:5], s24, v50, 0
	s_waitcnt vmcnt(12)
	v_add_co_u32_e64 v60, s[4:5], v69, v48
	v_mov_b32_e32 v48, v57
	v_addc_co_u32_e64 v61, s[4:5], v80, v49, s[4:5]
	v_mad_u64_u32 v[62:63], s[4:5], s25, v50, v[48:49]
	v_or_b32_e32 v63, 0x78, v70
	v_mad_u64_u32 v[67:68], s[4:5], s24, v63, 0
	global_load_dwordx4 v[48:51], v[58:59], off
	global_load_dwordx4 v[52:55], v[60:61], off
	v_mov_b32_e32 v57, v62
	v_mov_b32_e32 v58, v68
	v_mad_u64_u32 v[58:59], s[4:5], s25, v63, v[58:59]
	v_lshlrev_b64 v[56:57], 4, v[56:57]
	v_add_co_u32_e64 v76, s[4:5], v69, v56
	v_mov_b32_e32 v68, v58
	v_addc_co_u32_e64 v77, s[4:5], v80, v57, s[4:5]
	v_lshlrev_b64 v[56:57], 4, v[67:68]
	v_add_co_u32_e64 v67, s[4:5], v69, v56
	v_addc_co_u32_e64 v68, s[4:5], v80, v57, s[4:5]
	global_load_dwordx4 v[56:59], v[76:77], off
	global_load_dwordx4 v[60:63], v[67:68], off
.LBB0_17:
	s_or_b64 exec, exec, s[10:11]
	v_lshlrev_b32_e32 v67, 8, v70
	s_and_saveexec_b64 s[4:5], s[2:3]
	s_xor_b64 s[2:3], exec, s[4:5]
; %bb.18:
	v_lshlrev_b32_e32 v67, 8, v70
                                        ; implicit-def: $vgpr2_vgpr3
                                        ; implicit-def: $vgpr6_vgpr7
                                        ; implicit-def: $vgpr14_vgpr15
                                        ; implicit-def: $vgpr18_vgpr19
                                        ; implicit-def: $vgpr22_vgpr23
                                        ; implicit-def: $vgpr26_vgpr27
                                        ; implicit-def: $vgpr30_vgpr31
                                        ; implicit-def: $vgpr34_vgpr35
                                        ; implicit-def: $vgpr42_vgpr43
                                        ; implicit-def: $vgpr46_vgpr47
                                        ; implicit-def: $vgpr50_vgpr51
                                        ; implicit-def: $vgpr54_vgpr55
                                        ; implicit-def: $vgpr58_vgpr59
                                        ; implicit-def: $vgpr62_vgpr63
                                        ; implicit-def: $vgpr38_vgpr39
                                        ; implicit-def: $vgpr10_vgpr11
; %bb.19:
	s_or_saveexec_b64 s[2:3], s[2:3]
	v_lshlrev_b32_e32 v68, 4, v75
	s_xor_b64 exec, exec, s[2:3]
	s_cbranch_execz .LBB0_21
; %bb.20:
	s_waitcnt vmcnt(4)
	v_add_f64 v[46:47], v[14:15], -v[46:47]
	s_waitcnt vmcnt(0)
	v_add_f64 v[60:61], v[28:29], -v[60:61]
	v_add_f64 v[38:39], v[2:3], -v[38:39]
	;; [unrolled: 1-line block ×15, first 2 shown]
	v_fma_f64 v[28:29], v[28:29], 2.0, -v[60:61]
	v_add_f64 v[80:81], v[38:39], -v[52:53]
	v_add_f64 v[60:61], v[46:47], -v[60:61]
	v_add_f64 v[84:85], v[40:41], v[58:59]
	v_add_f64 v[86:87], v[50:51], v[32:33]
	s_mov_b32 s4, 0x667f3bcd
	s_mov_b32 s5, 0x3fe6a09e
	v_add_f64 v[76:77], v[34:35], -v[48:49]
	v_add_f64 v[78:79], v[42:43], -v[56:57]
	v_fma_f64 v[30:31], v[30:31], 2.0, -v[62:63]
	v_add_f64 v[62:63], v[44:45], v[62:63]
	v_add_f64 v[82:83], v[54:55], v[36:37]
	v_fma_f64 v[22:23], v[22:23], 2.0, -v[54:55]
	v_fma_f64 v[26:27], v[26:27], 2.0, -v[58:59]
	v_fma_f64 v[54:55], v[60:61], s[4:5], v[80:81]
	v_fma_f64 v[58:59], v[84:85], s[4:5], v[86:87]
	s_mov_b32 s11, 0xbfe6a09e
	s_mov_b32 s10, s4
	v_fma_f64 v[20:21], v[20:21], 2.0, -v[52:53]
	v_fma_f64 v[52:53], v[78:79], s[4:5], v[76:77]
	v_fma_f64 v[24:25], v[24:25], 2.0, -v[56:57]
	v_fma_f64 v[56:57], v[62:63], s[4:5], v[82:83]
	v_fma_f64 v[16:17], v[16:17], 2.0, -v[48:49]
	v_fma_f64 v[18:19], v[18:19], 2.0, -v[50:51]
	v_fma_f64 v[50:51], v[62:63], s[10:11], v[54:55]
	v_fma_f64 v[54:55], v[78:79], s[4:5], v[58:59]
	v_fma_f64 v[58:59], v[0:1], 2.0, -v[36:37]
	v_fma_f64 v[14:15], v[14:15], 2.0, -v[46:47]
	;; [unrolled: 1-line block ×9, first 2 shown]
	v_fma_f64 v[48:49], v[84:85], s[10:11], v[52:53]
	v_fma_f64 v[52:53], v[60:61], s[4:5], v[56:57]
	v_fma_f64 v[56:57], v[2:3], 2.0, -v[38:39]
	v_fma_f64 v[12:13], v[12:13], 2.0, -v[44:45]
	;; [unrolled: 1-line block ×6, first 2 shown]
	v_add_f64 v[20:21], v[58:59], -v[20:21]
	v_add_f64 v[30:31], v[14:15], -v[30:31]
	;; [unrolled: 1-line block ×4, first 2 shown]
	v_fma_f64 v[10:11], v[4:5], s[10:11], v[36:37]
	v_fma_f64 v[42:43], v[6:7], s[10:11], v[32:33]
	v_fma_f64 v[34:35], v[34:35], 2.0, -v[76:77]
	v_add_f64 v[18:19], v[88:89], -v[18:19]
	v_add_f64 v[24:25], v[92:93], -v[24:25]
	;; [unrolled: 1-line block ×4, first 2 shown]
	v_fma_f64 v[8:9], v[0:1], s[10:11], v[38:39]
	v_add_f64 v[60:61], v[30:31], v[20:21]
	v_add_f64 v[62:63], v[26:27], v[16:17]
	v_fma_f64 v[84:85], v[0:1], s[4:5], v[10:11]
	v_fma_f64 v[96:97], v[2:3], s[4:5], v[42:43]
	s_mov_b32 s12, 0xcf328d46
	s_mov_b32 s14, 0xa6aea964
	;; [unrolled: 1-line block ×6, first 2 shown]
	v_fma_f64 v[40:41], v[2:3], s[10:11], v[34:35]
	v_add_f64 v[44:45], v[18:19], -v[24:25]
	v_add_f64 v[46:47], v[22:23], -v[28:29]
	v_fma_f64 v[78:79], v[4:5], s[10:11], v[8:9]
	v_fma_f64 v[0:1], v[50:51], s[12:13], v[48:49]
	;; [unrolled: 1-line block ×6, first 2 shown]
	v_fma_f64 v[26:27], v[94:95], 2.0, -v[26:27]
	v_fma_f64 v[6:7], v[46:47], s[4:5], v[44:45]
	v_fma_f64 v[28:29], v[12:13], 2.0, -v[28:29]
	v_fma_f64 v[2:3], v[52:53], s[14:15], v[0:1]
	v_fma_f64 v[0:1], v[50:51], s[24:25], v[4:5]
	;; [unrolled: 1-line block ×4, first 2 shown]
	v_fma_f64 v[42:43], v[80:81], 2.0, -v[50:51]
	v_fma_f64 v[50:51], v[56:57], 2.0, -v[22:23]
	;; [unrolled: 1-line block ×5, first 2 shown]
	v_fma_f64 v[10:11], v[78:79], s[24:25], v[40:41]
	v_fma_f64 v[24:25], v[92:93], 2.0, -v[24:25]
	v_fma_f64 v[30:31], v[14:15], 2.0, -v[30:31]
	;; [unrolled: 1-line block ×6, first 2 shown]
	v_add_f64 v[48:49], v[38:39], -v[26:27]
	v_fma_f64 v[26:27], v[90:91], 2.0, -v[16:17]
	v_fma_f64 v[36:37], v[36:37], 2.0, -v[84:85]
	;; [unrolled: 1-line block ×3, first 2 shown]
	s_mov_b32 s21, 0xbfed906b
	s_mov_b32 s20, s12
	v_fma_f64 v[10:11], v[84:85], s[20:21], v[10:11]
	v_fma_f64 v[80:81], v[18:19], 2.0, -v[44:45]
	v_add_f64 v[28:29], v[56:57], -v[28:29]
	v_fma_f64 v[52:53], v[82:83], 2.0, -v[52:53]
	v_add_f64 v[82:83], v[50:51], -v[30:31]
	v_add_f64 v[84:85], v[26:27], -v[24:25]
	v_fma_f64 v[6:7], v[60:61], s[10:11], v[6:7]
	v_fma_f64 v[32:33], v[20:21], 2.0, -v[60:61]
	v_fma_f64 v[18:19], v[22:23], s[20:21], v[58:59]
	v_fma_f64 v[60:61], v[16:17], 2.0, -v[62:63]
	;; [unrolled: 2-line block ×3, first 2 shown]
	v_fma_f64 v[12:13], v[54:55], 2.0, -v[0:1]
	v_fma_f64 v[24:25], v[46:47], s[10:11], v[80:81]
	v_fma_f64 v[54:55], v[38:39], 2.0, -v[48:49]
	v_fma_f64 v[34:35], v[50:51], 2.0, -v[82:83]
	;; [unrolled: 1-line block ×4, first 2 shown]
	v_fma_f64 v[18:19], v[36:37], s[14:15], v[18:19]
	v_fma_f64 v[36:37], v[32:33], s[10:11], v[60:61]
	v_fma_f64 v[16:17], v[22:23], s[24:25], v[20:21]
	v_fma_f64 v[22:23], v[44:45], 2.0, -v[6:7]
	v_fma_f64 v[44:45], v[42:43], s[14:15], v[76:77]
	v_fma_f64 v[50:51], v[52:53], s[14:15], v[86:87]
	v_add_f64 v[26:27], v[48:49], -v[28:29]
	v_fma_f64 v[30:31], v[32:33], s[10:11], v[24:25]
	v_add_f64 v[34:35], v[54:55], -v[34:35]
	v_add_f64 v[32:33], v[88:89], -v[38:39]
	v_fma_f64 v[28:29], v[46:47], s[4:5], v[36:37]
	v_add_f64 v[24:25], v[82:83], v[84:85]
	v_fma_f64 v[38:39], v[52:53], s[20:21], v[44:45]
	v_fma_f64 v[36:37], v[42:43], s[12:13], v[50:51]
	v_fma_f64 v[46:47], v[48:49], 2.0, -v[26:27]
	v_fma_f64 v[52:53], v[78:79], 2.0, -v[16:17]
	v_fma_f64 v[50:51], v[54:55], 2.0, -v[34:35]
	v_fma_f64 v[48:49], v[88:89], 2.0, -v[32:33]
	v_fma_f64 v[54:55], v[58:59], 2.0, -v[18:19]
	v_fma_f64 v[58:59], v[80:81], 2.0, -v[30:31]
	v_fma_f64 v[56:57], v[60:61], 2.0, -v[28:29]
	v_fma_f64 v[20:21], v[62:63], 2.0, -v[4:5]
	v_fma_f64 v[62:63], v[76:77], 2.0, -v[38:39]
	v_fma_f64 v[60:61], v[86:87], 2.0, -v[36:37]
	v_fma_f64 v[44:45], v[84:85], 2.0, -v[24:25]
	v_fma_f64 v[42:43], v[40:41], 2.0, -v[10:11]
	v_fma_f64 v[40:41], v[96:97], 2.0, -v[8:9]
	v_lshlrev_b32_e32 v69, 12, v70
	v_add3_u32 v69, 0, v69, v68
	ds_write_b128 v69, v[48:51]
	ds_write_b128 v69, v[52:55] offset:256
	ds_write_b128 v69, v[56:59] offset:512
	;; [unrolled: 1-line block ×15, first 2 shown]
.LBB0_21:
	s_or_b64 exec, exec, s[2:3]
	s_or_b64 s[0:1], vcc, s[0:1]
	s_waitcnt vmcnt(0) lgkmcnt(0)
	s_barrier
	s_and_saveexec_b64 s[2:3], s[0:1]
	s_cbranch_execz .LBB0_23
; %bb.22:
	v_mul_u32_u24_e32 v0, 7, v70
	v_lshlrev_b32_e32 v4, 4, v0
	global_load_dwordx4 v[0:3], v4, s[28:29]
	global_load_dwordx4 v[6:9], v4, s[28:29] offset:48
	global_load_dwordx4 v[10:13], v4, s[28:29] offset:16
	;; [unrolled: 1-line block ×6, first 2 shown]
	v_add3_u32 v58, 0, v67, v68
	s_load_dwordx2 s[2:3], s[6:7], 0x0
	ds_read_b128 v[30:33], v58
	ds_read_b128 v[34:37], v58 offset:4096
	ds_read_b128 v[38:41], v58 offset:16384
	;; [unrolled: 1-line block ×7, first 2 shown]
	v_or_b32_e32 v4, 0x70, v70
	v_or_b32_e32 v5, 0x60, v70
	v_mul_lo_u32 v63, v4, v66
	v_mul_lo_u32 v67, v5, v66
	v_lshlrev_b32_e32 v69, 4, v66
	s_add_i32 s6, 0, 0x8000
	v_lshrrev_b32_e32 v68, 8, v63
	v_and_b32_e32 v76, 63, v63
	v_lshrrev_b32_e32 v63, 2, v63
	v_lshrrev_b32_e32 v77, 8, v67
	;; [unrolled: 1-line block ×3, first 2 shown]
	v_and_b32_e32 v78, 63, v67
	v_sub_u32_e32 v114, v67, v69
	v_and_b32_e32 v67, 0x3f0, v68
	v_lshl_add_u32 v68, v76, 4, 0
	v_and_b32_e32 v63, 0x3f0, v63
	v_and_b32_e32 v76, 0x3f0, v77
	;; [unrolled: 1-line block ×3, first 2 shown]
	v_lshlrev_b32_e32 v62, 5, v66
	v_lshl_add_u32 v92, v78, 4, 0
	v_sub_u32_e32 v115, v114, v69
	v_add_u32_e32 v67, s6, v67
	v_add_u32_e32 v63, s6, v63
	;; [unrolled: 1-line block ×4, first 2 shown]
	v_sub_u32_e32 v116, v115, v62
	ds_read_b128 v[76:79], v67 offset:2048
	ds_read_b128 v[80:83], v68 offset:32768
	ds_read_b128 v[84:87], v63 offset:1024
	ds_read_b128 v[88:91], v88 offset:2048
	ds_read_b64 v[62:63], v92 offset:32768
	ds_read_b128 v[92:95], v93 offset:1024
	v_and_b32_e32 v67, 63, v116
	v_lshl_add_u32 v67, v67, 4, 0
	s_waitcnt lgkmcnt(0)
	v_mul_f64 v[100:101], v[82:83], v[86:87]
	ds_read_b128 v[96:99], v67 offset:32768
	ds_read_b64 v[67:68], v67 offset:32776
	v_mul_f64 v[86:87], v[80:81], v[86:87]
	s_mov_b32 s0, 0x667f3bcd
	s_mov_b32 s1, 0x3fe6a09e
	;; [unrolled: 1-line block ×4, first 2 shown]
	v_sub_u32_e32 v69, v116, v69
	s_mul_i32 s3, s3, s8
	s_mul_hi_u32 s7, s2, s8
	s_add_i32 s3, s7, s3
	s_mul_i32 s2, s2, s8
	s_waitcnt vmcnt(6)
	v_mul_f64 v[102:103], v[34:35], v[2:3]
	v_mul_f64 v[2:3], v[36:37], v[2:3]
	s_waitcnt vmcnt(5)
	v_mul_f64 v[104:105], v[38:39], v[8:9]
	s_waitcnt vmcnt(4)
	;; [unrolled: 2-line block ×5, first 2 shown]
	v_mul_f64 v[112:113], v[52:53], v[24:25]
	v_mul_f64 v[20:21], v[44:45], v[20:21]
	v_fma_f64 v[36:37], v[36:37], v[0:1], -v[102:103]
	v_fma_f64 v[0:1], v[34:35], v[0:1], v[2:3]
	s_waitcnt vmcnt(0)
	v_mul_f64 v[2:3], v[60:61], v[28:29]
	v_mul_f64 v[24:25], v[50:51], v[24:25]
	;; [unrolled: 1-line block ×6, first 2 shown]
	v_fma_f64 v[34:35], v[44:45], v[18:19], -v[110:111]
	v_fma_f64 v[18:19], v[42:43], v[18:19], v[20:21]
	v_fma_f64 v[20:21], v[40:41], v[6:7], -v[104:105]
	v_fma_f64 v[40:41], v[46:47], v[10:11], v[106:107]
	v_fma_f64 v[42:43], v[54:55], v[14:15], v[108:109]
	;; [unrolled: 1-line block ×4, first 2 shown]
	v_fma_f64 v[22:23], v[52:53], v[22:23], -v[24:25]
	v_fma_f64 v[24:25], v[60:61], v[26:27], -v[28:29]
	v_fma_f64 v[6:7], v[38:39], v[6:7], v[8:9]
	v_fma_f64 v[8:9], v[48:49], v[10:11], -v[12:13]
	v_fma_f64 v[10:11], v[56:57], v[14:15], -v[16:17]
	v_add_f64 v[12:13], v[32:33], -v[20:21]
	v_add_f64 v[14:15], v[40:41], -v[42:43]
	;; [unrolled: 1-line block ×8, first 2 shown]
	v_mul_f64 v[10:11], v[62:63], v[94:95]
	s_waitcnt lgkmcnt(1)
	v_mul_f64 v[26:27], v[98:99], v[94:95]
	v_fma_f64 v[34:35], v[80:81], v[84:85], -v[100:101]
	v_add_f64 v[46:47], v[12:13], -v[14:15]
	v_add_f64 v[38:39], v[16:17], -v[2:3]
	v_add_f64 v[42:43], v[18:19], v[20:21]
	v_fma_f64 v[28:29], v[82:83], v[84:85], v[86:87]
	v_add_f64 v[48:49], v[24:25], v[6:7]
	v_fma_f64 v[10:11], v[98:99], v[92:93], v[10:11]
	v_fma_f64 v[26:27], v[62:63], v[92:93], -v[26:27]
	v_fma_f64 v[56:57], v[0:1], 2.0, -v[18:19]
	v_fma_f64 v[0:1], v[44:45], 2.0, -v[2:3]
	v_fma_f64 v[58:59], v[30:31], 2.0, -v[24:25]
	v_fma_f64 v[2:3], v[40:41], 2.0, -v[14:15]
	v_mul_f64 v[52:53], v[34:35], v[78:79]
	v_fma_f64 v[6:7], v[8:9], 2.0, -v[6:7]
	v_fma_f64 v[8:9], v[38:39], s[0:1], v[46:47]
	v_fma_f64 v[54:55], v[42:43], s[0:1], v[48:49]
	v_mul_f64 v[50:51], v[28:29], v[78:79]
	v_add_f64 v[78:79], v[56:57], -v[0:1]
	v_mul_f64 v[0:1], v[10:11], v[90:91]
	v_add_f64 v[80:81], v[58:59], -v[2:3]
	v_mul_f64 v[2:3], v[26:27], v[90:91]
	v_fma_f64 v[32:33], v[32:33], 2.0, -v[12:13]
	v_fma_f64 v[60:61], v[36:37], 2.0, -v[16:17]
	;; [unrolled: 1-line block ×3, first 2 shown]
	v_fma_f64 v[62:63], v[42:43], s[4:5], v[8:9]
	v_fma_f64 v[54:55], v[38:39], s[0:1], v[54:55]
	;; [unrolled: 1-line block ×3, first 2 shown]
	v_fma_f64 v[20:21], v[76:77], v[34:35], -v[50:51]
	v_fma_f64 v[76:77], v[88:89], v[26:27], -v[0:1]
	v_fma_f64 v[26:27], v[88:89], v[10:11], v[2:3]
	v_lshrrev_b32_e32 v2, 2, v114
	v_lshrrev_b32_e32 v0, 8, v114
	v_and_b32_e32 v2, 0x3f0, v2
	v_add_f64 v[52:53], v[32:33], -v[6:7]
	v_add_f64 v[82:83], v[60:61], -v[14:15]
	v_and_b32_e32 v0, 0x3f0, v0
	v_and_b32_e32 v1, 63, v114
	v_add_u32_e32 v2, s6, v2
	v_and_b32_e32 v3, 63, v69
	v_mul_f64 v[22:23], v[54:55], v[8:9]
	v_mul_f64 v[28:29], v[62:63], v[8:9]
	v_fma_f64 v[86:87], v[12:13], 2.0, -v[46:47]
	v_fma_f64 v[88:89], v[16:17], 2.0, -v[38:39]
	v_add_u32_e32 v0, s6, v0
	v_lshl_add_u32 v1, v1, 4, 0
	v_lshl_add_u32 v44, v3, 4, 0
	ds_read_b128 v[6:9], v2 offset:1024
	ds_read_b128 v[10:13], v44 offset:32768
	;; [unrolled: 1-line block ×3, first 2 shown]
	ds_read_b64 v[30:31], v1 offset:32768
	v_fma_f64 v[38:39], v[18:19], 2.0, -v[42:43]
	v_add_f64 v[50:51], v[52:53], -v[78:79]
	s_waitcnt lgkmcnt(2)
	v_mul_f64 v[18:19], v[12:13], v[8:9]
	v_add_f64 v[84:85], v[80:81], v[82:83]
	s_waitcnt lgkmcnt(0)
	v_mul_f64 v[40:41], v[30:31], v[8:9]
	v_mul_lo_u32 v112, v70, v66
	v_fma_f64 v[2:3], v[62:63], v[20:21], -v[22:23]
	v_fma_f64 v[0:1], v[54:55], v[20:21], v[28:29]
	v_fma_f64 v[98:99], v[24:25], 2.0, -v[48:49]
	v_and_b32_e32 v22, 63, v112
	v_fma_f64 v[94:95], v[30:31], v[6:7], -v[18:19]
	v_mul_f64 v[34:35], v[84:85], v[26:27]
	v_fma_f64 v[6:7], v[12:13], v[6:7], v[40:41]
	v_lshrrev_b32_e32 v13, 2, v115
	v_and_b32_e32 v12, 63, v115
	v_and_b32_e32 v13, 0x3f0, v13
	v_mul_f64 v[90:91], v[50:51], v[26:27]
	v_lshl_add_u32 v12, v12, 4, 0
	v_add_u32_e32 v18, s6, v13
	v_lshl_add_u32 v26, v22, 4, 0
	ds_read_b64 v[12:13], v12 offset:32768
	ds_read_b128 v[18:21], v18 offset:1024
	ds_read_b128 v[22:25], v26 offset:32768
	ds_read_b64 v[104:105], v26 offset:32776
	v_fma_f64 v[36:37], v[88:89], s[4:5], v[86:87]
	v_fma_f64 v[102:103], v[38:39], s[4:5], v[98:99]
	v_lshrrev_b32_e32 v26, 8, v115
	s_waitcnt lgkmcnt(1)
	v_mul_f64 v[30:31], v[24:25], v[20:21]
	v_and_b32_e32 v26, 0x3f0, v26
	v_add_u32_e32 v26, s6, v26
	v_fma_f64 v[8:9], v[50:51], v[76:77], -v[34:35]
	v_fma_f64 v[106:107], v[32:33], 2.0, -v[52:53]
	v_fma_f64 v[92:93], v[38:39], s[4:5], v[36:37]
	v_mul_lo_u32 v38, v72, v66
	ds_read_b64 v[108:109], v44 offset:32776
	ds_read_b128 v[26:29], v26 offset:2048
	v_fma_f64 v[110:111], v[12:13], v[18:19], -v[30:31]
	v_mul_f64 v[12:13], v[12:13], v[20:21]
	v_lshrrev_b32_e32 v20, 8, v38
	v_and_b32_e32 v20, 0x3f0, v20
	v_add_u32_e32 v20, s6, v20
	v_and_b32_e32 v21, 63, v38
	v_lshl_add_u32 v21, v21, 4, 0
	ds_read_b128 v[30:33], v20 offset:2048
	ds_read_b128 v[34:37], v21 offset:32768
	v_lshrrev_b32_e32 v20, 2, v38
	v_and_b32_e32 v20, 0x3f0, v20
	v_add_u32_e32 v20, s6, v20
	ds_read_b128 v[38:41], v20 offset:1024
	v_lshrrev_b32_e32 v20, 8, v116
	v_and_b32_e32 v20, 0x3f0, v20
	v_add_u32_e32 v20, s6, v20
	v_mul_f64 v[100:101], v[6:7], v[16:17]
	v_mul_f64 v[16:17], v[94:95], v[16:17]
	ds_read_b128 v[42:45], v20 offset:2048
	s_waitcnt lgkmcnt(1)
	v_mul_f64 v[20:21], v[36:37], v[40:41]
	v_fma_f64 v[12:13], v[24:25], v[18:19], v[12:13]
	v_fma_f64 v[58:59], v[58:59], 2.0, -v[80:81]
	v_fma_f64 v[18:19], v[56:57], 2.0, -v[78:79]
	v_mul_f64 v[24:25], v[110:111], v[28:29]
	v_fma_f64 v[56:57], v[60:61], 2.0, -v[82:83]
	v_mul_f64 v[40:41], v[34:35], v[40:41]
	v_fma_f64 v[60:61], v[88:89], s[0:1], v[102:103]
	v_fma_f64 v[20:21], v[34:35], v[38:39], -v[20:21]
	v_fma_f64 v[6:7], v[14:15], v[6:7], v[16:17]
	v_mul_f64 v[16:17], v[12:13], v[28:29]
	v_add_f64 v[78:79], v[58:59], -v[18:19]
	v_fma_f64 v[12:13], v[26:27], v[12:13], v[24:25]
	v_add_f64 v[56:57], v[106:107], -v[56:57]
	v_fma_f64 v[18:19], v[36:37], v[38:39], v[40:41]
	v_fma_f64 v[24:25], v[14:15], v[94:95], -v[100:101]
	v_mul_f64 v[14:15], v[20:21], v[32:33]
	v_mul_f64 v[28:29], v[60:61], v[6:7]
	;; [unrolled: 1-line block ×3, first 2 shown]
	v_fma_f64 v[16:17], v[26:27], v[110:111], -v[16:17]
	v_mul_f64 v[26:27], v[78:79], v[12:13]
	v_mul_f64 v[36:37], v[56:57], v[12:13]
	;; [unrolled: 1-line block ×3, first 2 shown]
	v_fma_f64 v[40:41], v[48:49], 2.0, -v[54:55]
	v_fma_f64 v[54:55], v[30:31], v[18:19], v[14:15]
	v_fma_f64 v[14:15], v[92:93], v[24:25], -v[28:29]
	v_fma_f64 v[12:13], v[60:61], v[24:25], v[34:35]
	v_lshrrev_b32_e32 v24, 2, v116
	v_and_b32_e32 v24, 0x3f0, v24
	v_add_u32_e32 v24, s6, v24
	v_fma_f64 v[18:19], v[56:57], v[16:17], -v[26:27]
	ds_read_b128 v[24:27], v24 offset:1024
	v_lshrrev_b32_e32 v28, 8, v69
	v_and_b32_e32 v28, 0x3f0, v28
	v_add_u32_e32 v28, s6, v28
	v_fma_f64 v[62:63], v[46:47], 2.0, -v[62:63]
	v_fma_f64 v[20:21], v[30:31], v[20:21], -v[32:33]
	ds_read_b128 v[28:31], v28 offset:2048
	s_waitcnt lgkmcnt(1)
	v_mul_f64 v[46:47], v[67:68], v[26:27]
	v_lshrrev_b32_e32 v32, 2, v69
	v_and_b32_e32 v32, 0x3f0, v32
	v_add_u32_e32 v32, s6, v32
	ds_read_b128 v[32:35], v32 offset:1024
	v_fma_f64 v[16:17], v[78:79], v[16:17], v[36:37]
	v_lshrrev_b32_e32 v36, 8, v112
	v_and_b32_e32 v36, 0x3f0, v36
	v_add_u32_e32 v36, s6, v36
	ds_read_b128 v[36:39], v36 offset:2048
	v_fma_f64 v[6:7], v[84:85], v[76:77], v[90:91]
	v_mul_f64 v[76:77], v[40:41], v[54:55]
	s_waitcnt lgkmcnt(1)
	v_mul_f64 v[82:83], v[108:109], v[34:35]
	v_mul_f64 v[26:27], v[96:97], v[26:27]
	v_fma_f64 v[88:89], v[96:97], v[24:25], -v[46:47]
	v_lshrrev_b32_e32 v46, 2, v112
	v_and_b32_e32 v46, 0x3f0, v46
	v_add_u32_e32 v46, s6, v46
	ds_read_b128 v[46:49], v46 offset:1024
	v_mul_f64 v[34:35], v[10:11], v[34:35]
	v_fma_f64 v[10:11], v[10:11], v[32:33], -v[82:83]
	v_fma_f64 v[26:27], v[67:68], v[24:25], v[26:27]
	v_fma_f64 v[24:25], v[62:63], v[20:21], -v[76:77]
	v_mul_f64 v[54:55], v[62:63], v[54:55]
	s_waitcnt lgkmcnt(0)
	v_mul_f64 v[62:63], v[104:105], v[48:49]
	v_mul_f64 v[66:67], v[88:89], v[44:45]
	;; [unrolled: 1-line block ×3, first 2 shown]
	v_fma_f64 v[32:33], v[108:109], v[32:33], v[34:35]
	v_fma_f64 v[34:35], v[52:53], 2.0, -v[50:51]
	v_mul_f64 v[50:51], v[10:11], v[30:31]
	v_mul_f64 v[44:45], v[26:27], v[44:45]
	v_fma_f64 v[52:53], v[80:81], 2.0, -v[84:85]
	v_fma_f64 v[62:63], v[22:23], v[46:47], -v[62:63]
	v_fma_f64 v[22:23], v[42:43], v[26:27], v[66:67]
	v_fma_f64 v[46:47], v[104:105], v[46:47], v[48:49]
	v_mul_f64 v[26:27], v[32:33], v[30:31]
	v_fma_f64 v[30:31], v[98:99], 2.0, -v[60:61]
	v_fma_f64 v[32:33], v[28:29], v[32:33], v[50:51]
	v_fma_f64 v[50:51], v[86:87], 2.0, -v[92:93]
	v_fma_f64 v[42:43], v[42:43], v[88:89], -v[44:45]
	v_mul_f64 v[44:45], v[62:63], v[38:39]
	v_mul_f64 v[48:49], v[52:53], v[22:23]
	;; [unrolled: 1-line block ×3, first 2 shown]
	v_fma_f64 v[10:11], v[28:29], v[10:11], -v[26:27]
	v_mul_f64 v[38:39], v[46:47], v[38:39]
	v_mul_f64 v[66:67], v[30:31], v[32:33]
	;; [unrolled: 1-line block ×3, first 2 shown]
	v_fma_f64 v[58:59], v[58:59], 2.0, -v[78:79]
	v_fma_f64 v[44:45], v[36:37], v[46:47], v[44:45]
	v_fma_f64 v[22:23], v[40:41], v[20:21], v[54:55]
	v_fma_f64 v[20:21], v[106:107], 2.0, -v[56:57]
	v_fma_f64 v[28:29], v[34:35], v[42:43], -v[48:49]
	v_fma_f64 v[26:27], v[52:53], v[42:43], v[60:61]
	v_fma_f64 v[32:33], v[50:51], v[10:11], -v[66:67]
	v_fma_f64 v[30:31], v[30:31], v[10:11], v[68:69]
	v_fma_f64 v[10:11], v[36:37], v[62:63], -v[38:39]
	v_mul_f64 v[34:35], v[58:59], v[44:45]
	v_mad_u64_u32 v[38:39], s[0:1], s18, v75, 0
	v_mul_f64 v[40:41], v[20:21], v[44:45]
	v_mad_u64_u32 v[42:43], s[0:1], s16, v70, 0
	v_mov_b32_e32 v36, v39
	v_mad_u64_u32 v[44:45], s[0:1], s19, v75, v[36:37]
	v_mov_b32_e32 v36, v43
	v_mad_u64_u32 v[45:46], s[0:1], s17, v70, v[36:37]
	s_lshl_b64 s[0:1], s[2:3], 4
	v_fma_f64 v[36:37], v[20:21], v[10:11], -v[34:35]
	v_fma_f64 v[34:35], v[58:59], v[10:11], v[40:41]
	s_add_u32 s0, s22, s0
	v_lshlrev_b64 v[10:11], 4, v[64:65]
	s_addc_u32 s1, s23, s1
	v_mov_b32_e32 v20, s1
	v_add_co_u32_e32 v40, vcc, s0, v10
	v_addc_co_u32_e32 v41, vcc, v20, v11, vcc
	v_mad_u64_u32 v[20:21], s[0:1], s16, v74, 0
	v_mov_b32_e32 v39, v44
	v_lshlrev_b64 v[10:11], 4, v[38:39]
	v_mov_b32_e32 v43, v45
	v_add_co_u32_e32 v40, vcc, v40, v10
	v_mad_u64_u32 v[38:39], s[0:1], s17, v74, v[21:22]
	v_addc_co_u32_e32 v41, vcc, v41, v11, vcc
	v_lshlrev_b64 v[10:11], 4, v[42:43]
	v_mov_b32_e32 v21, v38
	v_add_co_u32_e32 v10, vcc, v40, v10
	v_addc_co_u32_e32 v11, vcc, v41, v11, vcc
	global_store_dwordx4 v[10:11], v[34:37], off
	v_lshlrev_b64 v[10:11], 4, v[20:21]
	v_mad_u64_u32 v[20:21], s[0:1], s16, v73, 0
	v_add_co_u32_e32 v10, vcc, v40, v10
	v_mad_u64_u32 v[34:35], s[0:1], s17, v73, v[21:22]
	v_mad_u64_u32 v[35:36], s[0:1], s16, v72, 0
	v_addc_co_u32_e32 v11, vcc, v41, v11, vcc
	v_mov_b32_e32 v21, v34
	global_store_dwordx4 v[10:11], v[30:33], off
	v_lshlrev_b64 v[10:11], 4, v[20:21]
	v_mov_b32_e32 v20, v36
	v_mad_u64_u32 v[20:21], s[0:1], s17, v72, v[20:21]
	v_add_co_u32_e32 v10, vcc, v40, v10
	v_mov_b32_e32 v36, v20
	v_mad_u64_u32 v[20:21], s[0:1], s16, v71, 0
	v_addc_co_u32_e32 v11, vcc, v41, v11, vcc
	global_store_dwordx4 v[10:11], v[26:29], off
	v_lshlrev_b64 v[10:11], 4, v[35:36]
	v_mad_u64_u32 v[26:27], s[0:1], s17, v71, v[21:22]
	v_add_co_u32_e32 v10, vcc, v40, v10
	v_addc_co_u32_e32 v11, vcc, v41, v11, vcc
	v_mov_b32_e32 v21, v26
	global_store_dwordx4 v[10:11], v[22:25], off
	v_lshlrev_b64 v[10:11], 4, v[20:21]
	v_or_b32_e32 v29, 0x50, v70
	v_add_co_u32_e32 v10, vcc, v40, v10
	v_mad_u64_u32 v[27:28], s[0:1], s16, v29, 0
	v_addc_co_u32_e32 v11, vcc, v41, v11, vcc
	global_store_dwordx4 v[10:11], v[16:19], off
	v_mov_b32_e32 v20, v28
	v_mad_u64_u32 v[16:17], s[0:1], s16, v5, 0
	v_mad_u64_u32 v[20:21], s[0:1], s17, v29, v[20:21]
	;; [unrolled: 1-line block ×4, first 2 shown]
	v_mov_b32_e32 v28, v20
	v_lshlrev_b64 v[10:11], 4, v[27:28]
	v_mov_b32_e32 v5, v19
	v_mad_u64_u32 v[4:5], s[0:1], s17, v4, v[5:6]
	v_add_co_u32_e32 v10, vcc, v40, v10
	v_addc_co_u32_e32 v11, vcc, v41, v11, vcc
	global_store_dwordx4 v[10:11], v[12:15], off
	v_lshlrev_b64 v[10:11], 4, v[16:17]
	v_mov_b32_e32 v19, v4
	v_add_co_u32_e32 v10, vcc, v40, v10
	v_lshlrev_b64 v[4:5], 4, v[18:19]
	v_addc_co_u32_e32 v11, vcc, v41, v11, vcc
	v_add_co_u32_e32 v4, vcc, v40, v4
	v_addc_co_u32_e32 v5, vcc, v41, v5, vcc
	global_store_dwordx4 v[10:11], v[6:9], off
	global_store_dwordx4 v[4:5], v[0:3], off
.LBB0_23:
	s_endpgm
	.section	.rodata,"a",@progbits
	.p2align	6, 0x0
	.amdhsa_kernel fft_rtc_back_len128_factors_16_8_wgs_256_tpt_16_dp_op_CI_CI_sbcc_twdbase6_3step_dirReg
		.amdhsa_group_segment_fixed_size 0
		.amdhsa_private_segment_fixed_size 0
		.amdhsa_kernarg_size 112
		.amdhsa_user_sgpr_count 6
		.amdhsa_user_sgpr_private_segment_buffer 1
		.amdhsa_user_sgpr_dispatch_ptr 0
		.amdhsa_user_sgpr_queue_ptr 0
		.amdhsa_user_sgpr_kernarg_segment_ptr 1
		.amdhsa_user_sgpr_dispatch_id 0
		.amdhsa_user_sgpr_flat_scratch_init 0
		.amdhsa_user_sgpr_private_segment_size 0
		.amdhsa_uses_dynamic_stack 0
		.amdhsa_system_sgpr_private_segment_wavefront_offset 0
		.amdhsa_system_sgpr_workgroup_id_x 1
		.amdhsa_system_sgpr_workgroup_id_y 0
		.amdhsa_system_sgpr_workgroup_id_z 0
		.amdhsa_system_sgpr_workgroup_info 0
		.amdhsa_system_vgpr_workitem_id 0
		.amdhsa_next_free_vgpr 117
		.amdhsa_next_free_sgpr 51
		.amdhsa_reserve_vcc 1
		.amdhsa_reserve_flat_scratch 0
		.amdhsa_float_round_mode_32 0
		.amdhsa_float_round_mode_16_64 0
		.amdhsa_float_denorm_mode_32 3
		.amdhsa_float_denorm_mode_16_64 3
		.amdhsa_dx10_clamp 1
		.amdhsa_ieee_mode 1
		.amdhsa_fp16_overflow 0
		.amdhsa_exception_fp_ieee_invalid_op 0
		.amdhsa_exception_fp_denorm_src 0
		.amdhsa_exception_fp_ieee_div_zero 0
		.amdhsa_exception_fp_ieee_overflow 0
		.amdhsa_exception_fp_ieee_underflow 0
		.amdhsa_exception_fp_ieee_inexact 0
		.amdhsa_exception_int_div_zero 0
	.end_amdhsa_kernel
	.text
.Lfunc_end0:
	.size	fft_rtc_back_len128_factors_16_8_wgs_256_tpt_16_dp_op_CI_CI_sbcc_twdbase6_3step_dirReg, .Lfunc_end0-fft_rtc_back_len128_factors_16_8_wgs_256_tpt_16_dp_op_CI_CI_sbcc_twdbase6_3step_dirReg
                                        ; -- End function
	.section	.AMDGPU.csdata,"",@progbits
; Kernel info:
; codeLenInByte = 7796
; NumSgprs: 55
; NumVgprs: 117
; ScratchSize: 0
; MemoryBound: 1
; FloatMode: 240
; IeeeMode: 1
; LDSByteSize: 0 bytes/workgroup (compile time only)
; SGPRBlocks: 6
; VGPRBlocks: 29
; NumSGPRsForWavesPerEU: 55
; NumVGPRsForWavesPerEU: 117
; Occupancy: 2
; WaveLimiterHint : 1
; COMPUTE_PGM_RSRC2:SCRATCH_EN: 0
; COMPUTE_PGM_RSRC2:USER_SGPR: 6
; COMPUTE_PGM_RSRC2:TRAP_HANDLER: 0
; COMPUTE_PGM_RSRC2:TGID_X_EN: 1
; COMPUTE_PGM_RSRC2:TGID_Y_EN: 0
; COMPUTE_PGM_RSRC2:TGID_Z_EN: 0
; COMPUTE_PGM_RSRC2:TIDIG_COMP_CNT: 0
	.type	__hip_cuid_680c5ccc018e24af,@object ; @__hip_cuid_680c5ccc018e24af
	.section	.bss,"aw",@nobits
	.globl	__hip_cuid_680c5ccc018e24af
__hip_cuid_680c5ccc018e24af:
	.byte	0                               ; 0x0
	.size	__hip_cuid_680c5ccc018e24af, 1

	.ident	"AMD clang version 19.0.0git (https://github.com/RadeonOpenCompute/llvm-project roc-6.4.0 25133 c7fe45cf4b819c5991fe208aaa96edf142730f1d)"
	.section	".note.GNU-stack","",@progbits
	.addrsig
	.addrsig_sym __hip_cuid_680c5ccc018e24af
	.amdgpu_metadata
---
amdhsa.kernels:
  - .args:
      - .actual_access:  read_only
        .address_space:  global
        .offset:         0
        .size:           8
        .value_kind:     global_buffer
      - .address_space:  global
        .offset:         8
        .size:           8
        .value_kind:     global_buffer
      - .offset:         16
        .size:           8
        .value_kind:     by_value
      - .actual_access:  read_only
        .address_space:  global
        .offset:         24
        .size:           8
        .value_kind:     global_buffer
      - .actual_access:  read_only
        .address_space:  global
        .offset:         32
        .size:           8
        .value_kind:     global_buffer
      - .actual_access:  read_only
        .address_space:  global
        .offset:         40
        .size:           8
        .value_kind:     global_buffer
      - .offset:         48
        .size:           8
        .value_kind:     by_value
      - .actual_access:  read_only
        .address_space:  global
        .offset:         56
        .size:           8
        .value_kind:     global_buffer
      - .actual_access:  read_only
        .address_space:  global
        .offset:         64
        .size:           8
        .value_kind:     global_buffer
      - .offset:         72
        .size:           4
        .value_kind:     by_value
      - .actual_access:  read_only
        .address_space:  global
        .offset:         80
        .size:           8
        .value_kind:     global_buffer
      - .actual_access:  read_only
        .address_space:  global
        .offset:         88
        .size:           8
        .value_kind:     global_buffer
      - .actual_access:  read_only
        .address_space:  global
        .offset:         96
        .size:           8
        .value_kind:     global_buffer
      - .actual_access:  write_only
        .address_space:  global
        .offset:         104
        .size:           8
        .value_kind:     global_buffer
    .group_segment_fixed_size: 0
    .kernarg_segment_align: 8
    .kernarg_segment_size: 112
    .language:       OpenCL C
    .language_version:
      - 2
      - 0
    .max_flat_workgroup_size: 256
    .name:           fft_rtc_back_len128_factors_16_8_wgs_256_tpt_16_dp_op_CI_CI_sbcc_twdbase6_3step_dirReg
    .private_segment_fixed_size: 0
    .sgpr_count:     55
    .sgpr_spill_count: 0
    .symbol:         fft_rtc_back_len128_factors_16_8_wgs_256_tpt_16_dp_op_CI_CI_sbcc_twdbase6_3step_dirReg.kd
    .uniform_work_group_size: 1
    .uses_dynamic_stack: false
    .vgpr_count:     117
    .vgpr_spill_count: 0
    .wavefront_size: 64
amdhsa.target:   amdgcn-amd-amdhsa--gfx906
amdhsa.version:
  - 1
  - 2
...

	.end_amdgpu_metadata
